;; amdgpu-corpus repo=ROCm/rocFFT kind=compiled arch=gfx1030 opt=O3
	.text
	.amdgcn_target "amdgcn-amd-amdhsa--gfx1030"
	.amdhsa_code_object_version 6
	.protected	fft_rtc_fwd_len686_factors_7_7_7_2_wgs_49_tpt_49_sp_ip_CI_sbrr_dirReg ; -- Begin function fft_rtc_fwd_len686_factors_7_7_7_2_wgs_49_tpt_49_sp_ip_CI_sbrr_dirReg
	.globl	fft_rtc_fwd_len686_factors_7_7_7_2_wgs_49_tpt_49_sp_ip_CI_sbrr_dirReg
	.p2align	8
	.type	fft_rtc_fwd_len686_factors_7_7_7_2_wgs_49_tpt_49_sp_ip_CI_sbrr_dirReg,@function
fft_rtc_fwd_len686_factors_7_7_7_2_wgs_49_tpt_49_sp_ip_CI_sbrr_dirReg: ; @fft_rtc_fwd_len686_factors_7_7_7_2_wgs_49_tpt_49_sp_ip_CI_sbrr_dirReg
; %bb.0:
	s_clause 0x2
	s_load_dwordx2 s[14:15], s[4:5], 0x18
	s_load_dwordx4 s[8:11], s[4:5], 0x0
	s_load_dwordx2 s[12:13], s[4:5], 0x50
	v_mul_u32_u24_e32 v1, 0x53a, v0
	v_mov_b32_e32 v3, 0
	v_add_nc_u32_sdwa v5, s6, v1 dst_sel:DWORD dst_unused:UNUSED_PAD src0_sel:DWORD src1_sel:WORD_1
	v_mov_b32_e32 v1, 0
	v_mov_b32_e32 v6, v3
	v_mov_b32_e32 v2, 0
	s_waitcnt lgkmcnt(0)
	s_load_dwordx2 s[2:3], s[14:15], 0x0
	v_cmp_lt_u64_e64 s0, s[10:11], 2
	s_and_b32 vcc_lo, exec_lo, s0
	s_cbranch_vccnz .LBB0_8
; %bb.1:
	s_load_dwordx2 s[0:1], s[4:5], 0x10
	v_mov_b32_e32 v1, 0
	s_add_u32 s6, s14, 8
	v_mov_b32_e32 v2, 0
	s_addc_u32 s7, s15, 0
	s_mov_b64 s[18:19], 1
	s_waitcnt lgkmcnt(0)
	s_add_u32 s16, s0, 8
	s_addc_u32 s17, s1, 0
.LBB0_2:                                ; =>This Inner Loop Header: Depth=1
	s_load_dwordx2 s[20:21], s[16:17], 0x0
                                        ; implicit-def: $vgpr7_vgpr8
	s_mov_b32 s0, exec_lo
	s_waitcnt lgkmcnt(0)
	v_or_b32_e32 v4, s21, v6
	v_cmpx_ne_u64_e32 0, v[3:4]
	s_xor_b32 s1, exec_lo, s0
	s_cbranch_execz .LBB0_4
; %bb.3:                                ;   in Loop: Header=BB0_2 Depth=1
	v_cvt_f32_u32_e32 v4, s20
	v_cvt_f32_u32_e32 v7, s21
	s_sub_u32 s0, 0, s20
	s_subb_u32 s22, 0, s21
	v_fmac_f32_e32 v4, 0x4f800000, v7
	v_rcp_f32_e32 v4, v4
	v_mul_f32_e32 v4, 0x5f7ffffc, v4
	v_mul_f32_e32 v7, 0x2f800000, v4
	v_trunc_f32_e32 v7, v7
	v_fmac_f32_e32 v4, 0xcf800000, v7
	v_cvt_u32_f32_e32 v7, v7
	v_cvt_u32_f32_e32 v4, v4
	v_mul_lo_u32 v8, s0, v7
	v_mul_hi_u32 v9, s0, v4
	v_mul_lo_u32 v10, s22, v4
	v_add_nc_u32_e32 v8, v9, v8
	v_mul_lo_u32 v9, s0, v4
	v_add_nc_u32_e32 v8, v8, v10
	v_mul_hi_u32 v10, v4, v9
	v_mul_lo_u32 v11, v4, v8
	v_mul_hi_u32 v12, v4, v8
	v_mul_hi_u32 v13, v7, v9
	v_mul_lo_u32 v9, v7, v9
	v_mul_hi_u32 v14, v7, v8
	v_mul_lo_u32 v8, v7, v8
	v_add_co_u32 v10, vcc_lo, v10, v11
	v_add_co_ci_u32_e32 v11, vcc_lo, 0, v12, vcc_lo
	v_add_co_u32 v9, vcc_lo, v10, v9
	v_add_co_ci_u32_e32 v9, vcc_lo, v11, v13, vcc_lo
	v_add_co_ci_u32_e32 v10, vcc_lo, 0, v14, vcc_lo
	v_add_co_u32 v8, vcc_lo, v9, v8
	v_add_co_ci_u32_e32 v9, vcc_lo, 0, v10, vcc_lo
	v_add_co_u32 v4, vcc_lo, v4, v8
	v_add_co_ci_u32_e32 v7, vcc_lo, v7, v9, vcc_lo
	v_mul_hi_u32 v8, s0, v4
	v_mul_lo_u32 v10, s22, v4
	v_mul_lo_u32 v9, s0, v7
	v_add_nc_u32_e32 v8, v8, v9
	v_mul_lo_u32 v9, s0, v4
	v_add_nc_u32_e32 v8, v8, v10
	v_mul_hi_u32 v10, v4, v9
	v_mul_lo_u32 v11, v4, v8
	v_mul_hi_u32 v12, v4, v8
	v_mul_hi_u32 v13, v7, v9
	v_mul_lo_u32 v9, v7, v9
	v_mul_hi_u32 v14, v7, v8
	v_mul_lo_u32 v8, v7, v8
	v_add_co_u32 v10, vcc_lo, v10, v11
	v_add_co_ci_u32_e32 v11, vcc_lo, 0, v12, vcc_lo
	v_add_co_u32 v9, vcc_lo, v10, v9
	v_add_co_ci_u32_e32 v9, vcc_lo, v11, v13, vcc_lo
	v_add_co_ci_u32_e32 v10, vcc_lo, 0, v14, vcc_lo
	v_add_co_u32 v8, vcc_lo, v9, v8
	v_add_co_ci_u32_e32 v9, vcc_lo, 0, v10, vcc_lo
	v_add_co_u32 v4, vcc_lo, v4, v8
	v_add_co_ci_u32_e32 v11, vcc_lo, v7, v9, vcc_lo
	v_mul_hi_u32 v13, v5, v4
	v_mad_u64_u32 v[9:10], null, v6, v4, 0
	v_mad_u64_u32 v[7:8], null, v5, v11, 0
	;; [unrolled: 1-line block ×3, first 2 shown]
	v_add_co_u32 v4, vcc_lo, v13, v7
	v_add_co_ci_u32_e32 v7, vcc_lo, 0, v8, vcc_lo
	v_add_co_u32 v4, vcc_lo, v4, v9
	v_add_co_ci_u32_e32 v4, vcc_lo, v7, v10, vcc_lo
	v_add_co_ci_u32_e32 v7, vcc_lo, 0, v12, vcc_lo
	v_add_co_u32 v4, vcc_lo, v4, v11
	v_add_co_ci_u32_e32 v9, vcc_lo, 0, v7, vcc_lo
	v_mul_lo_u32 v10, s21, v4
	v_mad_u64_u32 v[7:8], null, s20, v4, 0
	v_mul_lo_u32 v11, s20, v9
	v_sub_co_u32 v7, vcc_lo, v5, v7
	v_add3_u32 v8, v8, v11, v10
	v_sub_nc_u32_e32 v10, v6, v8
	v_subrev_co_ci_u32_e64 v10, s0, s21, v10, vcc_lo
	v_add_co_u32 v11, s0, v4, 2
	v_add_co_ci_u32_e64 v12, s0, 0, v9, s0
	v_sub_co_u32 v13, s0, v7, s20
	v_sub_co_ci_u32_e32 v8, vcc_lo, v6, v8, vcc_lo
	v_subrev_co_ci_u32_e64 v10, s0, 0, v10, s0
	v_cmp_le_u32_e32 vcc_lo, s20, v13
	v_cmp_eq_u32_e64 s0, s21, v8
	v_cndmask_b32_e64 v13, 0, -1, vcc_lo
	v_cmp_le_u32_e32 vcc_lo, s21, v10
	v_cndmask_b32_e64 v14, 0, -1, vcc_lo
	v_cmp_le_u32_e32 vcc_lo, s20, v7
	;; [unrolled: 2-line block ×3, first 2 shown]
	v_cndmask_b32_e64 v15, 0, -1, vcc_lo
	v_cmp_eq_u32_e32 vcc_lo, s21, v10
	v_cndmask_b32_e64 v7, v15, v7, s0
	v_cndmask_b32_e32 v10, v14, v13, vcc_lo
	v_add_co_u32 v13, vcc_lo, v4, 1
	v_add_co_ci_u32_e32 v14, vcc_lo, 0, v9, vcc_lo
	v_cmp_ne_u32_e32 vcc_lo, 0, v10
	v_cndmask_b32_e32 v8, v14, v12, vcc_lo
	v_cndmask_b32_e32 v10, v13, v11, vcc_lo
	v_cmp_ne_u32_e32 vcc_lo, 0, v7
	v_cndmask_b32_e32 v8, v9, v8, vcc_lo
	v_cndmask_b32_e32 v7, v4, v10, vcc_lo
.LBB0_4:                                ;   in Loop: Header=BB0_2 Depth=1
	s_andn2_saveexec_b32 s0, s1
	s_cbranch_execz .LBB0_6
; %bb.5:                                ;   in Loop: Header=BB0_2 Depth=1
	v_cvt_f32_u32_e32 v4, s20
	s_sub_i32 s1, 0, s20
	v_rcp_iflag_f32_e32 v4, v4
	v_mul_f32_e32 v4, 0x4f7ffffe, v4
	v_cvt_u32_f32_e32 v4, v4
	v_mul_lo_u32 v7, s1, v4
	v_mul_hi_u32 v7, v4, v7
	v_add_nc_u32_e32 v4, v4, v7
	v_mul_hi_u32 v4, v5, v4
	v_mul_lo_u32 v7, v4, s20
	v_add_nc_u32_e32 v8, 1, v4
	v_sub_nc_u32_e32 v7, v5, v7
	v_subrev_nc_u32_e32 v9, s20, v7
	v_cmp_le_u32_e32 vcc_lo, s20, v7
	v_cndmask_b32_e32 v7, v7, v9, vcc_lo
	v_cndmask_b32_e32 v4, v4, v8, vcc_lo
	v_cmp_le_u32_e32 vcc_lo, s20, v7
	v_add_nc_u32_e32 v8, 1, v4
	v_cndmask_b32_e32 v7, v4, v8, vcc_lo
	v_mov_b32_e32 v8, v3
.LBB0_6:                                ;   in Loop: Header=BB0_2 Depth=1
	s_or_b32 exec_lo, exec_lo, s0
	s_load_dwordx2 s[0:1], s[6:7], 0x0
	v_mul_lo_u32 v4, v8, s20
	v_mul_lo_u32 v11, v7, s21
	v_mad_u64_u32 v[9:10], null, v7, s20, 0
	s_add_u32 s18, s18, 1
	s_addc_u32 s19, s19, 0
	s_add_u32 s6, s6, 8
	s_addc_u32 s7, s7, 0
	;; [unrolled: 2-line block ×3, first 2 shown]
	v_add3_u32 v4, v10, v11, v4
	v_sub_co_u32 v5, vcc_lo, v5, v9
	v_sub_co_ci_u32_e32 v4, vcc_lo, v6, v4, vcc_lo
	s_waitcnt lgkmcnt(0)
	v_mul_lo_u32 v6, s1, v5
	v_mul_lo_u32 v4, s0, v4
	v_mad_u64_u32 v[1:2], null, s0, v5, v[1:2]
	v_cmp_ge_u64_e64 s0, s[18:19], s[10:11]
	s_and_b32 vcc_lo, exec_lo, s0
	v_add3_u32 v2, v6, v2, v4
	s_cbranch_vccnz .LBB0_9
; %bb.7:                                ;   in Loop: Header=BB0_2 Depth=1
	v_mov_b32_e32 v5, v7
	v_mov_b32_e32 v6, v8
	s_branch .LBB0_2
.LBB0_8:
	v_mov_b32_e32 v8, v6
	v_mov_b32_e32 v7, v5
.LBB0_9:
	s_lshl_b64 s[0:1], s[10:11], 3
	v_mul_hi_u32 v3, 0x539782a, v0
	s_add_u32 s0, s14, s0
	s_addc_u32 s1, s15, s1
	s_load_dwordx2 s[4:5], s[4:5], 0x20
	s_load_dwordx2 s[0:1], s[0:1], 0x0
                                        ; implicit-def: $vgpr6
                                        ; implicit-def: $vgpr4
                                        ; implicit-def: $vgpr30
                                        ; implicit-def: $vgpr28
                                        ; implicit-def: $vgpr41_vgpr42
                                        ; implicit-def: $vgpr39_vgpr40
                                        ; implicit-def: $vgpr37_vgpr38
                                        ; implicit-def: $vgpr35_vgpr36
                                        ; implicit-def: $vgpr33_vgpr34
                                        ; implicit-def: $vgpr31_vgpr32
	v_mul_u32_u24_e32 v3, 49, v3
	v_sub_nc_u32_e32 v20, v0, v3
	v_add_nc_u32_e32 v24, 49, v20
	v_add_nc_u32_e32 v22, 0x62, v20
	;; [unrolled: 1-line block ×5, first 2 shown]
	s_waitcnt lgkmcnt(0)
	v_cmp_gt_u64_e32 vcc_lo, s[4:5], v[7:8]
	v_mul_lo_u32 v0, s0, v8
	v_mul_lo_u32 v3, s1, v7
	v_mad_u64_u32 v[9:10], null, s0, v7, v[1:2]
	v_cmp_le_u64_e64 s0, s[4:5], v[7:8]
	v_add_nc_u32_e32 v14, 0xf5, v20
                                        ; implicit-def: $vgpr2
	v_add3_u32 v10, v3, v10, v0
                                        ; implicit-def: $vgpr0
	s_and_saveexec_b32 s1, s0
	s_xor_b32 s0, exec_lo, s1
	s_cbranch_execz .LBB0_11
; %bb.10:
	v_mov_b32_e32 v21, 0
	v_add_nc_u32_e32 v30, 0x93, v20
	v_add_nc_u32_e32 v0, 49, v20
	;; [unrolled: 1-line block ×4, first 2 shown]
	v_mov_b32_e32 v31, v21
	v_mov_b32_e32 v1, v21
	;; [unrolled: 1-line block ×6, first 2 shown]
	v_add_nc_u32_e32 v2, 0x126, v20
	v_add_nc_u32_e32 v28, 0xf5, v20
	v_mov_b32_e32 v38, v31
	v_mov_b32_e32 v42, v1
	;; [unrolled: 1-line block ×12, first 2 shown]
.LBB0_11:
	s_or_saveexec_b32 s1, s0
	v_lshlrev_b64 v[26:27], 3, v[9:10]
	v_lshl_add_u32 v49, v20, 3, 0
	v_add_nc_u32_e32 v48, 0x157, v20
	v_add_nc_u32_e32 v47, 0x188, v20
	;; [unrolled: 1-line block ×7, first 2 shown]
	s_xor_b32 exec_lo, exec_lo, s1
	s_cbranch_execz .LBB0_13
; %bb.12:
	v_mad_u64_u32 v[0:1], null, s2, v20, 0
	v_mad_u64_u32 v[2:3], null, s2, v24, 0
	;; [unrolled: 1-line block ×4, first 2 shown]
	v_add_co_u32 v17, s0, s12, v26
	v_mad_u64_u32 v[8:9], null, s3, v20, v[1:2]
	v_mad_u64_u32 v[9:10], null, s3, v24, v[3:4]
	;; [unrolled: 1-line block ×3, first 2 shown]
	v_add_co_ci_u32_e64 v19, s0, s13, v27, s0
	v_mov_b32_e32 v1, v8
	v_mad_u64_u32 v[7:8], null, s3, v18, v[7:8]
	v_mov_b32_e32 v3, v9
	v_mad_u64_u32 v[8:9], null, s2, v16, 0
	;; [unrolled: 2-line block ×3, first 2 shown]
	v_lshlrev_b64 v[0:1], 3, v[0:1]
	v_lshlrev_b64 v[2:3], 3, v[2:3]
	;; [unrolled: 1-line block ×4, first 2 shown]
	v_mad_u64_u32 v[41:42], null, s2, v44, 0
	v_mad_u64_u32 v[30:31], null, s3, v16, v[9:10]
	;; [unrolled: 1-line block ×3, first 2 shown]
	v_add_co_u32 v0, s0, v17, v0
	v_add_co_ci_u32_e64 v1, s0, v19, v1, s0
	v_mov_b32_e32 v9, v30
	v_add_co_u32 v2, s0, v17, v2
	v_mov_b32_e32 v13, v32
	v_mad_u64_u32 v[32:33], null, s3, v14, v[11:12]
	v_mad_u64_u32 v[33:34], null, s2, v48, 0
	;; [unrolled: 1-line block ×3, first 2 shown]
	v_add_co_ci_u32_e64 v3, s0, v19, v3, s0
	v_mov_b32_e32 v11, v32
	v_add_co_u32 v4, s0, v17, v4
	v_mov_b32_e32 v13, v34
	v_mov_b32_e32 v32, v35
	v_mad_u64_u32 v[35:36], null, s2, v47, 0
	v_lshlrev_b64 v[8:9], 3, v[8:9]
	v_mad_u64_u32 v[37:38], null, s3, v48, v[13:14]
	v_add_co_ci_u32_e64 v5, s0, v19, v5, s0
	v_add_co_u32 v6, s0, v17, v6
	v_mov_b32_e32 v13, v36
	v_lshlrev_b64 v[10:11], 3, v[10:11]
	v_mov_b32_e32 v34, v37
	v_mad_u64_u32 v[37:38], null, s2, v46, 0
	v_mad_u64_u32 v[39:40], null, s3, v47, v[13:14]
	v_add_co_ci_u32_e64 v7, s0, v19, v7, s0
	v_add_co_u32 v8, s0, v17, v8
	v_mov_b32_e32 v13, v38
	v_lshlrev_b64 v[30:31], 3, v[31:32]
	v_mov_b32_e32 v36, v39
	v_add_co_ci_u32_e64 v9, s0, v19, v9, s0
	v_mad_u64_u32 v[38:39], null, s3, v46, v[13:14]
	v_mad_u64_u32 v[39:40], null, s2, v45, 0
	v_mov_b32_e32 v15, v42
	v_add_co_u32 v10, s0, v17, v10
	v_lshlrev_b64 v[32:33], 3, v[33:34]
	v_mad_u64_u32 v[50:51], null, s2, v43, 0
	v_mov_b32_e32 v13, v40
	v_add_co_ci_u32_e64 v11, s0, v19, v11, s0
	v_add_co_u32 v30, s0, v17, v30
	v_lshlrev_b64 v[34:35], 3, v[35:36]
	v_mad_u64_u32 v[52:53], null, s3, v45, v[13:14]
	v_mad_u64_u32 v[53:54], null, s3, v44, v[15:16]
	v_add_co_ci_u32_e64 v31, s0, v19, v31, s0
	v_mad_u64_u32 v[54:55], null, s2, v29, 0
	v_add_co_u32 v32, s0, v17, v32
	v_lshlrev_b64 v[36:37], 3, v[37:38]
	v_add_co_ci_u32_e64 v33, s0, v19, v33, s0
	v_mov_b32_e32 v13, v51
	v_add_co_u32 v34, s0, v17, v34
	v_add_co_ci_u32_e64 v35, s0, v19, v35, s0
	v_add_co_u32 v36, s0, v17, v36
	s_clause 0x3
	global_load_dwordx2 v[8:9], v[8:9], off
	global_load_dwordx2 v[10:11], v[10:11], off
	;; [unrolled: 1-line block ×4, first 2 shown]
	v_mad_u64_u32 v[30:31], null, s3, v43, v[13:14]
	v_mov_b32_e32 v13, v55
	v_add_co_ci_u32_e64 v37, s0, v19, v37, s0
	v_mov_b32_e32 v40, v52
	v_mov_b32_e32 v42, v53
	s_clause 0x1
	global_load_dwordx2 v[52:53], v[34:35], off
	global_load_dwordx2 v[60:61], v[36:37], off
	v_mad_u64_u32 v[33:34], null, s3, v29, v[13:14]
	v_lshlrev_b64 v[31:32], 3, v[39:40]
	v_lshlrev_b64 v[34:35], 3, v[41:42]
	v_mov_b32_e32 v51, v30
	v_mov_b32_e32 v21, 0
	;; [unrolled: 1-line block ×3, first 2 shown]
	v_add_co_u32 v30, s0, v17, v31
	v_mov_b32_e32 v55, v33
	v_add_co_ci_u32_e64 v31, s0, v19, v32, s0
	v_lshlrev_b64 v[36:37], 3, v[50:51]
	v_add_co_u32 v32, s0, v17, v34
	v_add_co_ci_u32_e64 v33, s0, v19, v35, s0
	v_lshlrev_b64 v[34:35], 3, v[54:55]
	v_add_co_u32 v36, s0, v17, v36
	v_add_co_ci_u32_e64 v37, s0, v19, v37, s0
	v_mov_b32_e32 v25, v21
	v_add_co_u32 v34, s0, v17, v34
	v_add_co_ci_u32_e64 v35, s0, v19, v35, s0
	s_clause 0x7
	global_load_dwordx2 v[50:51], v[0:1], off
	global_load_dwordx2 v[54:55], v[2:3], off
	;; [unrolled: 1-line block ×8, first 2 shown]
	v_mov_b32_e32 v13, v21
	v_mov_b32_e32 v15, v21
	;; [unrolled: 1-line block ×11, first 2 shown]
	v_add_nc_u32_e32 v1, 0x800, v49
	v_mov_b32_e32 v30, v18
	v_mov_b32_e32 v2, v12
	;; [unrolled: 1-line block ×11, first 2 shown]
	v_add_nc_u32_e32 v3, 0xc00, v49
	v_add_nc_u32_e32 v5, 0x1000, v49
	s_waitcnt vmcnt(10)
	ds_write2_b64 v1, v[56:57], v[58:59] offset0:38 offset1:87
	s_waitcnt vmcnt(8)
	ds_write2_b64 v1, v[52:53], v[60:61] offset0:136 offset1:185
	s_waitcnt vmcnt(6)
	ds_write2_b64 v49, v[50:51], v[54:55] offset1:49
	s_waitcnt vmcnt(4)
	ds_write2_b64 v49, v[62:63], v[64:65] offset0:98 offset1:147
	ds_write2_b64 v49, v[8:9], v[10:11] offset0:196 offset1:245
	s_waitcnt vmcnt(2)
	ds_write2_b64 v3, v[66:67], v[68:69] offset0:106 offset1:155
	s_waitcnt vmcnt(0)
	ds_write2_b64 v5, v[70:71], v[72:73] offset0:76 offset1:125
.LBB0_13:
	s_or_b32 exec_lo, exec_lo, s1
	v_add_nc_u32_e32 v13, 0x1000, v49
	v_add_nc_u32_e32 v17, 0x800, v49
	;; [unrolled: 1-line block ×3, first 2 shown]
	s_waitcnt lgkmcnt(0)
	s_barrier
	buffer_gl0_inv
	ds_read2_b64 v[7:10], v49 offset0:98 offset1:147
	ds_read2_b64 v[50:53], v13 offset0:76 offset1:125
	;; [unrolled: 1-line block ×6, first 2 shown]
	ds_read2_b64 v[70:73], v49 offset1:49
	s_waitcnt lgkmcnt(0)
	s_barrier
	buffer_gl0_inv
	v_lshlrev_b64 v[41:42], 3, v[41:42]
	v_lshlrev_b64 v[39:40], 3, v[39:40]
	;; [unrolled: 1-line block ×6, first 2 shown]
	v_lshl_add_u32 v28, v28, 3, 0
	v_add_f32_e32 v1, v7, v50
	v_add_f32_e32 v3, v8, v51
	v_sub_f32_e32 v11, v8, v51
	v_add_f32_e32 v19, v54, v58
	v_add_f32_e32 v75, v10, v53
	;; [unrolled: 1-line block ×4, first 2 shown]
	v_sub_f32_e32 v5, v7, v50
	v_add_f32_e32 v23, v55, v59
	v_sub_f32_e32 v25, v54, v58
	v_add_f32_e32 v74, v9, v52
	v_sub_f32_e32 v76, v9, v52
	v_sub_f32_e32 v77, v10, v53
	v_add_f32_e32 v78, v56, v60
	v_sub_f32_e32 v81, v57, v61
	v_add_f32_e32 v52, v63, v67
	v_sub_f32_e32 v53, v66, v62
	v_sub_f32_e32 v54, v67, v63
	v_add_f32_e32 v63, v65, v69
	v_add_f32_e32 v7, v19, v1
	;; [unrolled: 1-line block ×3, first 2 shown]
	v_sub_f32_e32 v57, v19, v1
	v_sub_f32_e32 v19, v51, v19
	;; [unrolled: 1-line block ×3, first 2 shown]
	v_add_f32_e32 v62, v64, v68
	v_add_f32_e32 v8, v23, v3
	;; [unrolled: 1-line block ×4, first 2 shown]
	v_sub_f32_e32 v50, v53, v25
	v_mul_f32_e32 v61, 0x3d64c772, v19
	v_sub_f32_e32 v80, v56, v60
	v_sub_f32_e32 v64, v68, v64
	v_add_f32_e32 v56, v52, v8
	v_add_f32_e32 v66, v62, v10
	v_sub_f32_e32 v58, v23, v3
	v_add_f32_e32 v10, v53, v25
	v_sub_f32_e32 v25, v25, v5
	;; [unrolled: 2-line block ×3, first 2 shown]
	v_sub_f32_e32 v68, v9, v11
	v_fma_f32 v9, 0x3f3bfb3b, v57, -v61
	v_mul_f32_e32 v61, 0xbf08b237, v50
	v_sub_f32_e32 v1, v1, v51
	v_sub_f32_e32 v3, v3, v52
	v_add_f32_e32 v55, v51, v7
	v_sub_f32_e32 v65, v69, v65
	v_add_f32_e32 v8, v71, v56
	;; [unrolled: 2-line block ×3, first 2 shown]
	v_fma_f32 v71, 0x3f5ff5aa, v25, -v61
	v_sub_f32_e32 v5, v5, v53
	v_mul_f32_e32 v1, 0x3f4a47b2, v1
	v_mul_f32_e32 v3, 0x3f4a47b2, v3
	v_mul_f32_e32 v25, 0x3f5ff5aa, v25
	v_add_f32_e32 v7, v70, v55
	v_mul_f32_e32 v60, 0xbf08b237, v60
	v_mul_f32_e32 v10, 0x3d64c772, v23
	v_add_f32_e32 v59, v59, v11
	v_fmamk_f32 v56, v56, 0xbf955555, v8
	v_sub_f32_e32 v11, v11, v54
	v_mul_f32_e32 v53, 0x3f5ff5aa, v68
	v_fma_f32 v54, 0xbf3bfb3b, v57, -v1
	v_fma_f32 v57, 0xbf3bfb3b, v58, -v3
	;; [unrolled: 1-line block ×3, first 2 shown]
	v_fmamk_f32 v3, v23, 0x3d64c772, v3
	v_fmamk_f32 v5, v5, 0x3eae86e6, v61
	v_fmamk_f32 v55, v55, 0xbf955555, v7
	v_fma_f32 v70, 0x3f5ff5aa, v68, -v60
	v_fma_f32 v10, 0x3f3bfb3b, v58, -v10
	v_fma_f32 v58, 0xbeae86e6, v11, -v53
	v_add_f32_e32 v57, v57, v56
	v_fmac_f32_e32 v25, 0x3ee1c552, v69
	v_fmamk_f32 v1, v19, 0x3d64c772, v1
	v_fmamk_f32 v11, v11, 0x3eae86e6, v60
	v_add_f32_e32 v3, v3, v56
	v_fmac_f32_e32 v5, 0x3ee1c552, v69
	v_add_f32_e32 v82, v9, v55
	v_fmac_f32_e32 v70, 0x3ee1c552, v59
	v_add_f32_e32 v9, v72, v66
	v_add_f32_e32 v72, v10, v56
	v_fmac_f32_e32 v71, 0x3ee1c552, v69
	v_add_f32_e32 v68, v54, v55
	v_fmac_f32_e32 v58, 0x3ee1c552, v59
	;; [unrolled: 2-line block ×3, first 2 shown]
	v_sub_f32_e32 v55, v57, v25
	v_add_f32_e32 v57, v25, v57
	v_sub_f32_e32 v59, v3, v5
	v_add_f32_e32 v61, v5, v3
	v_sub_f32_e32 v3, v74, v62
	v_sub_f32_e32 v5, v62, v78
	;; [unrolled: 1-line block ×4, first 2 shown]
	v_add_f32_e32 v51, v71, v72
	v_sub_f32_e32 v53, v72, v71
	v_add_f32_e32 v54, v58, v68
	v_sub_f32_e32 v56, v68, v58
	;; [unrolled: 2-line block ×3, first 2 shown]
	v_sub_f32_e32 v1, v78, v74
	v_sub_f32_e32 v11, v79, v75
	v_add_f32_e32 v23, v64, v80
	v_sub_f32_e32 v62, v64, v80
	v_sub_f32_e32 v63, v76, v64
	;; [unrolled: 1-line block ×3, first 2 shown]
	v_mul_f32_e32 v3, 0x3f4a47b2, v3
	v_mul_f32_e32 v71, 0x3d64c772, v5
	;; [unrolled: 1-line block ×4, first 2 shown]
	v_sub_f32_e32 v50, v82, v70
	v_add_f32_e32 v52, v70, v82
	v_sub_f32_e32 v69, v65, v81
	v_sub_f32_e32 v70, v81, v77
	v_fmamk_f32 v5, v5, 0x3d64c772, v3
	v_fma_f32 v71, 0x3f3bfb3b, v1, -v71
	v_fma_f32 v1, 0xbf3bfb3b, v1, -v3
	v_fmamk_f32 v3, v25, 0x3d64c772, v19
	v_mul_f32_e32 v25, 0xbf08b237, v62
	v_fma_f32 v62, 0x3f3bfb3b, v11, -v72
	v_fma_f32 v11, 0xbf3bfb3b, v11, -v19
	v_and_b32_e32 v19, 0xff, v20
	v_mul_f32_e32 v72, 0x3f5ff5aa, v64
	v_add_f32_e32 v10, v73, v67
	v_add_f32_e32 v68, v65, v81
	v_sub_f32_e32 v65, v77, v65
	v_fma_f32 v73, 0x3f5ff5aa, v64, -v25
	v_mul_f32_e32 v64, 0xbf08b237, v69
	v_fmamk_f32 v25, v63, 0x3eae86e6, v25
	v_mul_lo_u16 v19, v19, 37
	v_fma_f32 v69, 0xbeae86e6, v63, -v72
	v_mul_f32_e32 v63, 0x3f5ff5aa, v70
	v_fmamk_f32 v66, v66, 0xbf955555, v9
	v_fmamk_f32 v72, v65, 0x3eae86e6, v64
	v_lshrrev_b16 v19, 8, v19
	v_add_f32_e32 v23, v23, v76
	v_fma_f32 v74, 0xbeae86e6, v65, -v63
	v_fmamk_f32 v63, v67, 0xbf955555, v10
	v_add_f32_e32 v75, v5, v66
	v_sub_nc_u16 v5, v20, v19
	v_fmac_f32_e32 v25, 0x3ee1c552, v23
	v_fmac_f32_e32 v73, 0x3ee1c552, v23
	v_add_f32_e32 v65, v62, v63
	v_and_b32_e32 v62, 0xff, v0
	v_lshrrev_b16 v5, 1, v5
	v_fmac_f32_e32 v69, 0x3ee1c552, v23
	v_mad_u32_u24 v76, v20, 48, v49
	v_add_f32_e32 v68, v68, v77
	v_mul_lo_u16 v62, v62, 37
	v_and_b32_e32 v5, 0x7f, v5
	v_add_f32_e32 v1, v1, v66
	ds_write2_b64 v76, v[7:8], v[58:59] offset1:1
	v_fmac_f32_e32 v74, 0x3ee1c552, v68
	v_lshrrev_b16 v23, 8, v62
	v_add_nc_u16 v5, v5, v19
	v_fma_f32 v70, 0x3f5ff5aa, v70, -v64
	v_add_f32_e32 v64, v71, v66
	v_add_f32_e32 v58, v74, v1
	v_sub_nc_u16 v19, v0, v23
	v_sub_f32_e32 v66, v1, v74
	v_lshrrev_b16 v5, 2, v5
	v_add_f32_e32 v3, v3, v63
	v_add_f32_e32 v11, v11, v63
	v_lshrrev_b16 v7, 1, v19
	v_fmac_f32_e32 v72, 0x3ee1c552, v68
	v_mul_lo_u16 v8, v5, 7
	v_add_f32_e32 v71, v25, v3
	v_sub_f32_e32 v59, v11, v69
	v_and_b32_e32 v7, 0x7f, v7
	v_add_f32_e32 v67, v69, v11
	v_sub_f32_e32 v69, v3, v25
	v_fmac_f32_e32 v70, 0x3ee1c552, v68
	v_add_f32_e32 v68, v75, v72
	v_add_nc_u16 v1, v7, v23
	v_sub_nc_u16 v7, v20, v8
	v_mov_b32_e32 v8, 6
	v_sub_f32_e32 v62, v64, v70
	v_add_f32_e32 v64, v70, v64
	v_lshrrev_b16 v1, 2, v1
	v_sub_f32_e32 v70, v75, v72
	v_mul_u32_u24_sdwa v11, v7, v8 dst_sel:DWORD dst_unused:UNUSED_PAD src0_sel:BYTE_0 src1_sel:DWORD
	v_mad_i32_i24 v80, v0, 56, 0
	v_add_f32_e32 v63, v73, v65
	v_mul_lo_u16 v3, v1, 7
	v_sub_f32_e32 v65, v65, v73
	v_lshlrev_b32_e32 v19, 3, v11
	ds_write2_b64 v76, v[54:55], v[50:51] offset0:2 offset1:3
	ds_write2_b64 v76, v[52:53], v[56:57] offset0:4 offset1:5
	ds_write_b64 v76, v[60:61] offset:48
	v_sub_nc_u16 v3, v0, v3
	ds_write2_b64 v80, v[9:10], v[68:69] offset1:1
	ds_write2_b64 v80, v[58:59], v[62:63] offset0:2 offset1:3
	ds_write2_b64 v80, v[64:65], v[66:67] offset0:4 offset1:5
	ds_write_b64 v80, v[70:71] offset:48
	s_waitcnt lgkmcnt(0)
	s_barrier
	v_mul_u32_u24_sdwa v8, v3, v8 dst_sel:DWORD dst_unused:UNUSED_PAD src0_sel:BYTE_0 src1_sel:DWORD
	buffer_gl0_inv
	v_lshl_add_u32 v25, v6, 3, 0
	v_add_nc_u32_e32 v51, 0x400, v49
	v_mad_i32_i24 v50, 0xffffffd0, v0, v80
	v_lshlrev_b32_e32 v23, 3, v8
	s_clause 0x5
	global_load_dwordx4 v[8:11], v19, s[8:9] offset:32
	global_load_dwordx4 v[52:55], v23, s[8:9] offset:32
	global_load_dwordx4 v[56:59], v19, s[8:9]
	global_load_dwordx4 v[60:63], v19, s[8:9] offset:16
	global_load_dwordx4 v[64:67], v23, s[8:9] offset:16
	global_load_dwordx4 v[68:71], v23, s[8:9]
	ds_read2_b64 v[72:75], v15 offset0:106 offset1:155
	ds_read2_b64 v[76:79], v13 offset0:76 offset1:125
	v_lshl_add_u32 v23, v4, 3, 0
	v_lshl_add_u32 v19, v2, 3, 0
	ds_read_b64 v[92:93], v25
	ds_read_b64 v[94:95], v23
	ds_read2_b64 v[80:83], v17 offset0:136 offset1:185
	ds_read_b64 v[96:97], v19
	ds_read2_b64 v[84:87], v51 offset0:117 offset1:215
	ds_read2_b64 v[88:91], v49 offset1:147
	ds_read_b64 v[98:99], v50
	s_waitcnt vmcnt(0) lgkmcnt(0)
	s_barrier
	buffer_gl0_inv
	v_mul_f32_e32 v0, v73, v9
	v_mul_f32_e32 v2, v72, v9
	;; [unrolled: 1-line block ×9, first 2 shown]
	v_fma_f32 v0, v72, v8, -v0
	v_fmac_f32_e32 v2, v73, v8
	v_fma_f32 v4, v76, v10, -v4
	v_fmac_f32_e32 v6, v77, v10
	v_mul_f32_e32 v8, v57, v92
	v_mul_f32_e32 v10, v59, v95
	v_mul_f32_e32 v57, v59, v94
	v_mul_f32_e32 v59, v61, v97
	v_fma_f32 v9, v74, v52, -v9
	v_fmac_f32_e32 v11, v75, v52
	v_mul_f32_e32 v52, v61, v96
	v_mul_f32_e32 v61, v63, v81
	v_mul_f32_e32 v63, v63, v80
	v_mul_f32_e32 v72, v83, v67
	;; [unrolled: 6-line block ×3, first 2 shown]
	v_mul_f32_e32 v71, v84, v71
	v_mul_f32_e32 v74, v91, v69
	;; [unrolled: 1-line block ×3, first 2 shown]
	v_fma_f32 v75, v56, v92, -v100
	v_fmac_f32_e32 v8, v56, v93
	v_fma_f32 v10, v58, v94, -v10
	v_fmac_f32_e32 v57, v58, v95
	;; [unrolled: 2-line block ×8, first 2 shown]
	v_add_f32_e32 v64, v75, v4
	v_add_f32_e32 v66, v10, v0
	;; [unrolled: 1-line block ×8, first 2 shown]
	v_sub_f32_e32 v4, v75, v4
	v_add_f32_e32 v75, v60, v59
	v_sub_f32_e32 v6, v8, v6
	v_add_f32_e32 v8, v69, v55
	;; [unrolled: 2-line block ×4, first 2 shown]
	v_sub_f32_e32 v56, v58, v56
	v_sub_f32_e32 v9, v61, v9
	;; [unrolled: 1-line block ×8, first 2 shown]
	v_add_f32_e32 v59, v66, v64
	v_add_f32_e32 v60, v70, v68
	;; [unrolled: 1-line block ×4, first 2 shown]
	v_sub_f32_e32 v63, v66, v64
	v_sub_f32_e32 v65, v67, v66
	;; [unrolled: 1-line block ×4, first 2 shown]
	v_add_f32_e32 v70, v56, v0
	v_sub_f32_e32 v71, v56, v0
	v_sub_f32_e32 v0, v0, v4
	;; [unrolled: 1-line block ×6, first 2 shown]
	v_add_f32_e32 v73, v58, v9
	v_add_f32_e32 v76, v52, v2
	v_sub_f32_e32 v77, v52, v2
	v_sub_f32_e32 v2, v2, v6
	;; [unrolled: 1-line block ×6, first 2 shown]
	v_add_f32_e32 v9, v54, v11
	v_sub_f32_e32 v83, v54, v11
	v_sub_f32_e32 v85, v53, v58
	v_sub_f32_e32 v86, v55, v54
	v_add_f32_e32 v54, v67, v59
	v_add_f32_e32 v58, v72, v60
	v_mul_f32_e32 v60, 0xbf08b237, v71
	v_add_f32_e32 v71, v73, v53
	v_mul_f32_e32 v53, 0x3f5ff5aa, v0
	v_sub_f32_e32 v68, v68, v72
	v_sub_f32_e32 v52, v6, v52
	v_sub_f32_e32 v84, v11, v55
	v_add_f32_e32 v59, v75, v61
	v_add_f32_e32 v57, v57, v62
	;; [unrolled: 1-line block ×3, first 2 shown]
	v_mul_f32_e32 v61, 0xbf08b237, v77
	v_add_f32_e32 v72, v9, v55
	v_mul_f32_e32 v55, 0x3f5ff5aa, v2
	v_mul_f32_e32 v62, 0x3d64c772, v65
	;; [unrolled: 1-line block ×4, first 2 shown]
	v_add_f32_e32 v8, v54, v88
	v_add_f32_e32 v9, v58, v89
	v_fma_f32 v0, 0x3f5ff5aa, v0, -v60
	v_fma_f32 v88, 0xbeae86e6, v56, -v53
	v_fmamk_f32 v89, v56, 0x3eae86e6, v60
	v_sub_f32_e32 v64, v64, v67
	v_sub_f32_e32 v74, v75, v74
	v_add_f32_e32 v6, v76, v6
	v_mul_f32_e32 v67, 0x3d64c772, v69
	v_mul_f32_e32 v68, 0x3f4a47b2, v68
	v_fma_f32 v2, 0x3f5ff5aa, v2, -v61
	v_fma_f32 v60, 0xbeae86e6, v52, -v55
	v_fmamk_f32 v90, v52, 0x3eae86e6, v61
	v_fma_f32 v52, 0x3f3bfb3b, v63, -v62
	v_fmac_f32_e32 v0, 0x3ee1c552, v4
	v_fmac_f32_e32 v88, 0x3ee1c552, v4
	;; [unrolled: 1-line block ×3, first 2 shown]
	v_fmamk_f32 v4, v54, 0xbf955555, v8
	v_mul_f32_e32 v64, 0x3f4a47b2, v64
	v_mul_f32_e32 v75, 0xbf08b237, v83
	;; [unrolled: 1-line block ×6, first 2 shown]
	v_add_f32_e32 v10, v59, v98
	v_add_f32_e32 v11, v57, v99
	v_fma_f32 v56, 0x3f3bfb3b, v66, -v67
	v_fma_f32 v61, 0xbf3bfb3b, v66, -v68
	v_fmamk_f32 v62, v69, 0x3d64c772, v68
	v_fmac_f32_e32 v2, 0x3ee1c552, v6
	v_fmac_f32_e32 v60, 0x3ee1c552, v6
	;; [unrolled: 1-line block ×3, first 2 shown]
	v_fmamk_f32 v6, v58, 0xbf955555, v9
	v_add_f32_e32 v54, v52, v4
	v_mul_f32_e32 v83, 0x3f5ff5aa, v84
	v_fma_f32 v53, 0xbf3bfb3b, v63, -v64
	v_fmamk_f32 v55, v65, 0x3d64c772, v64
	v_fma_f32 v63, 0x3f3bfb3b, v78, -v70
	v_fma_f32 v64, 0x3f3bfb3b, v79, -v76
	;; [unrolled: 1-line block ×7, first 2 shown]
	v_fmamk_f32 v78, v59, 0xbf955555, v10
	v_fmamk_f32 v79, v57, 0xbf955555, v11
	v_add_f32_e32 v56, v56, v6
	v_add_f32_e32 v59, v61, v6
	;; [unrolled: 1-line block ×3, first 2 shown]
	v_sub_f32_e32 v52, v54, v2
	v_add_f32_e32 v54, v2, v54
	v_fmamk_f32 v2, v80, 0x3d64c772, v81
	v_fmamk_f32 v73, v85, 0x3eae86e6, v73
	v_fma_f32 v70, 0xbeae86e6, v86, -v83
	v_fmac_f32_e32 v66, 0x3ee1c552, v72
	v_add_f32_e32 v58, v53, v4
	v_add_f32_e32 v4, v55, v4
	;; [unrolled: 1-line block ×5, first 2 shown]
	v_sub_f32_e32 v55, v56, v0
	v_sub_f32_e32 v61, v6, v89
	v_add_f32_e32 v63, v89, v6
	v_fmac_f32_e32 v76, 0x3ee1c552, v71
	v_fmamk_f32 v0, v74, 0x3d64c772, v77
	v_fmamk_f32 v6, v86, 0x3eae86e6, v75
	v_add_f32_e32 v2, v2, v79
	v_mov_b32_e32 v74, 0x188
	v_mov_b32_e32 v75, 3
	v_fmac_f32_e32 v73, 0x3ee1c552, v71
	v_fmac_f32_e32 v67, 0x3ee1c552, v71
	v_add_f32_e32 v82, v64, v79
	v_sub_f32_e32 v64, v69, v66
	v_fmac_f32_e32 v70, 0x3ee1c552, v72
	v_add_f32_e32 v66, v66, v69
	v_sub_f32_e32 v69, v84, v76
	v_add_f32_e32 v0, v0, v78
	v_fmac_f32_e32 v6, 0x3ee1c552, v72
	v_add_f32_e32 v71, v76, v84
	v_mul_u32_u24_sdwa v72, v5, v74 dst_sel:DWORD dst_unused:UNUSED_PAD src0_sel:WORD_0 src1_sel:DWORD
	v_lshlrev_b32_sdwa v76, v75, v7 dst_sel:DWORD dst_unused:UNUSED_PAD src0_sel:DWORD src1_sel:BYTE_0
	v_sub_f32_e32 v5, v2, v73
	v_add_f32_e32 v7, v73, v2
	v_mul_u32_u24_sdwa v1, v1, v74 dst_sel:DWORD dst_unused:UNUSED_PAD src0_sel:WORD_0 src1_sel:DWORD
	v_lshlrev_b32_sdwa v2, v75, v3 dst_sel:DWORD dst_unused:UNUSED_PAD src0_sel:DWORD src1_sel:BYTE_0
	v_add_f32_e32 v83, v65, v78
	v_add_f32_e32 v56, v60, v58
	v_sub_f32_e32 v57, v59, v88
	v_sub_f32_e32 v58, v58, v60
	v_add_f32_e32 v60, v90, v4
	v_sub_f32_e32 v62, v4, v90
	v_add_f32_e32 v4, v6, v0
	v_sub_f32_e32 v6, v0, v6
	v_add3_u32 v0, 0, v72, v76
	v_add3_u32 v1, 0, v1, v2
	v_mul_u32_u24_e32 v2, 6, v20
	v_add_f32_e32 v59, v88, v59
	v_add_f32_e32 v65, v67, v82
	;; [unrolled: 1-line block ×3, first 2 shown]
	v_sub_f32_e32 v67, v82, v67
	v_sub_f32_e32 v70, v83, v70
	ds_write2_b64 v0, v[8:9], v[60:61] offset1:7
	ds_write2_b64 v0, v[56:57], v[52:53] offset0:14 offset1:21
	ds_write2_b64 v0, v[54:55], v[58:59] offset0:28 offset1:35
	ds_write_b64 v0, v[62:63] offset:336
	ds_write2_b64 v1, v[10:11], v[4:5] offset1:7
	ds_write2_b64 v1, v[68:69], v[64:65] offset0:14 offset1:21
	ds_write2_b64 v1, v[66:67], v[70:71] offset0:28 offset1:35
	v_lshlrev_b32_e32 v0, 3, v2
	ds_write_b64 v1, v[6:7] offset:336
	s_waitcnt lgkmcnt(0)
	s_barrier
	buffer_gl0_inv
	s_clause 0x2
	global_load_dwordx4 v[8:11], v0, s[8:9] offset:368
	global_load_dwordx4 v[4:7], v0, s[8:9] offset:352
	;; [unrolled: 1-line block ×3, first 2 shown]
	v_lshlrev_b64 v[52:53], 3, v[20:21]
	v_add_co_u32 v52, s0, s8, v52
	v_add_co_ci_u32_e64 v53, s0, s9, v53, s0
	v_add_co_u32 v41, s0, s8, v41
	v_add_co_ci_u32_e64 v42, s0, s9, v42, s0
	;; [unrolled: 2-line block ×12, first 2 shown]
	v_add_co_u32 v72, s0, 0x800, v56
	ds_read2_b64 v[34:37], v15 offset0:106 offset1:155
	ds_read2_b64 v[38:41], v13 offset0:76 offset1:125
	;; [unrolled: 1-line block ×3, first 2 shown]
	v_add_co_ci_u32_e64 v73, s0, 0, v57, s0
	ds_read2_b64 v[56:59], v51 offset0:117 offset1:215
	ds_read_b64 v[74:75], v19
	ds_read_b64 v[76:77], v25
	ds_read_b64 v[78:79], v50
	ds_read_b64 v[80:81], v23
	ds_read2_b64 v[60:63], v49 offset1:147
	s_waitcnt vmcnt(0) lgkmcnt(0)
	s_barrier
	buffer_gl0_inv
	v_mul_f32_e32 v42, v9, v35
	v_mul_f32_e32 v51, v9, v34
	;; [unrolled: 1-line block ×24, first 2 shown]
	v_fma_f32 v34, v8, v34, -v42
	v_fmac_f32_e32 v51, v8, v35
	v_fma_f32 v35, v36, v8, -v82
	v_fmac_f32_e32 v9, v37, v8
	;; [unrolled: 2-line block ×3, first 2 shown]
	v_fma_f32 v36, v40, v10, -v85
	v_fma_f32 v39, v0, v76, -v94
	v_fmac_f32_e32 v95, v0, v77
	v_fma_f32 v40, v2, v80, -v96
	v_fmac_f32_e32 v3, v2, v81
	v_fmac_f32_e32 v11, v41, v10
	v_fma_f32 v10, v6, v52, -v86
	v_fmac_f32_e32 v87, v6, v53
	v_fma_f32 v37, v54, v6, -v88
	;; [unrolled: 2-line block ×6, first 2 shown]
	v_fmac_f32_e32 v1, v63, v0
	v_add_f32_e32 v0, v39, v8
	v_add_f32_e32 v41, v40, v34
	;; [unrolled: 1-line block ×8, first 2 shown]
	v_sub_f32_e32 v8, v39, v8
	v_add_f32_e32 v39, v1, v11
	v_add_f32_e32 v59, v93, v9
	v_sub_f32_e32 v34, v40, v34
	v_sub_f32_e32 v3, v3, v51
	;; [unrolled: 1-line block ×4, first 2 shown]
	v_add_f32_e32 v57, v38, v37
	v_sub_f32_e32 v58, v95, v84
	v_add_f32_e32 v40, v5, v7
	v_sub_f32_e32 v1, v1, v11
	v_sub_f32_e32 v4, v4, v35
	;; [unrolled: 1-line block ×5, first 2 shown]
	v_add_f32_e32 v7, v41, v0
	v_add_f32_e32 v35, v53, v52
	v_sub_f32_e32 v2, v2, v36
	v_add_f32_e32 v36, v56, v55
	v_add_f32_e32 v37, v59, v39
	v_sub_f32_e32 v38, v41, v0
	v_sub_f32_e32 v0, v0, v42
	;; [unrolled: 1-line block ×6, first 2 shown]
	v_add_f32_e32 v74, v6, v34
	v_sub_f32_e32 v75, v6, v34
	v_sub_f32_e32 v34, v34, v8
	v_add_f32_e32 v76, v10, v3
	v_sub_f32_e32 v62, v56, v55
	v_sub_f32_e32 v55, v55, v57
	;; [unrolled: 1-line block ×6, first 2 shown]
	v_add_f32_e32 v82, v5, v9
	v_sub_f32_e32 v83, v5, v9
	v_sub_f32_e32 v9, v9, v1
	v_add_f32_e32 v7, v42, v7
	v_add_f32_e32 v35, v54, v35
	v_sub_f32_e32 v63, v59, v39
	v_sub_f32_e32 v39, v39, v40
	;; [unrolled: 1-line block ×5, first 2 shown]
	v_add_f32_e32 v3, v11, v4
	v_sub_f32_e32 v4, v4, v2
	v_add_f32_e32 v36, v57, v36
	v_add_f32_e32 v37, v40, v37
	v_add_f32_e32 v8, v74, v8
	v_add_f32_e32 v40, v76, v58
	v_mul_f32_e32 v57, 0x3f4a47b2, v0
	v_mul_f32_e32 v58, 0x3d64c772, v41
	;; [unrolled: 1-line block ×6, first 2 shown]
	v_sub_f32_e32 v5, v1, v5
	v_add_f32_e32 v54, v82, v1
	v_mul_f32_e32 v77, 0xbf08b237, v77
	v_mul_f32_e32 v82, 0x3f5ff5aa, v80
	;; [unrolled: 1-line block ×7, first 2 shown]
	v_add_f32_e32 v0, v7, v60
	v_add_f32_e32 v1, v35, v61
	v_sub_f32_e32 v11, v2, v11
	v_add_f32_e32 v42, v3, v2
	v_mul_f32_e32 v39, 0x3f4a47b2, v39
	v_mul_f32_e32 v85, 0x3d64c772, v59
	;; [unrolled: 1-line block ×3, first 2 shown]
	v_add_f32_e32 v2, v36, v78
	v_add_f32_e32 v3, v37, v79
	v_fmamk_f32 v41, v41, 0x3d64c772, v57
	v_fma_f32 v58, 0x3f3bfb3b, v38, -v58
	v_fma_f32 v38, 0xbf3bfb3b, v38, -v57
	v_fmamk_f32 v53, v53, 0x3d64c772, v52
	v_fma_f32 v57, 0x3f3bfb3b, v51, -v74
	v_fma_f32 v51, 0xbf3bfb3b, v51, -v52
	;; [unrolled: 1-line block ×3, first 2 shown]
	v_fmamk_f32 v52, v6, 0x3eae86e6, v75
	v_fma_f32 v60, 0xbeae86e6, v6, -v76
	v_fmamk_f32 v74, v10, 0x3eae86e6, v77
	v_fma_f32 v75, 0xbeae86e6, v10, -v82
	;; [unrolled: 2-line block ×3, first 2 shown]
	v_fma_f32 v55, 0xbf3bfb3b, v62, -v55
	v_fma_f32 v62, 0x3f5ff5aa, v4, -v81
	v_fmamk_f32 v78, v5, 0x3eae86e6, v83
	v_fma_f32 v79, 0xbeae86e6, v5, -v87
	v_fmamk_f32 v4, v7, 0xbf955555, v0
	v_fmamk_f32 v5, v35, 0xbf955555, v1
	v_fma_f32 v61, 0x3f5ff5aa, v80, -v77
	v_fmamk_f32 v56, v59, 0x3d64c772, v39
	v_fma_f32 v59, 0x3f3bfb3b, v63, -v85
	v_fma_f32 v39, 0xbf3bfb3b, v63, -v39
	v_fmamk_f32 v63, v11, 0x3eae86e6, v81
	v_fma_f32 v76, 0xbeae86e6, v11, -v86
	v_fmac_f32_e32 v52, 0x3ee1c552, v8
	v_fmac_f32_e32 v34, 0x3ee1c552, v8
	;; [unrolled: 1-line block ×3, first 2 shown]
	v_fmamk_f32 v7, v36, 0xbf955555, v2
	v_fmamk_f32 v8, v37, 0xbf955555, v3
	v_fma_f32 v77, 0x3f5ff5aa, v9, -v83
	v_fmac_f32_e32 v74, 0x3ee1c552, v40
	v_add_f32_e32 v36, v41, v4
	v_add_f32_e32 v37, v53, v5
	v_fmac_f32_e32 v61, 0x3ee1c552, v40
	v_fmac_f32_e32 v75, 0x3ee1c552, v40
	v_add_f32_e32 v9, v58, v4
	v_add_f32_e32 v11, v57, v5
	;; [unrolled: 1-line block ×4, first 2 shown]
	v_fmac_f32_e32 v63, 0x3ee1c552, v42
	v_fmac_f32_e32 v62, 0x3ee1c552, v42
	;; [unrolled: 1-line block ×5, first 2 shown]
	v_add_f32_e32 v42, v6, v7
	v_add_f32_e32 v58, v56, v8
	;; [unrolled: 1-line block ×5, first 2 shown]
	v_fmac_f32_e32 v77, 0x3ee1c552, v54
	v_add_f32_e32 v51, v10, v7
	v_add_f32_e32 v4, v74, v36
	v_sub_f32_e32 v5, v37, v52
	v_sub_f32_e32 v6, v9, v61
	v_add_f32_e32 v7, v34, v11
	v_add_f32_e32 v8, v61, v9
	v_sub_f32_e32 v9, v11, v34
	v_add_f32_e32 v10, v75, v35
	v_sub_f32_e32 v11, v38, v60
	v_sub_f32_e32 v34, v35, v75
	v_add_f32_e32 v35, v60, v38
	v_sub_f32_e32 v36, v36, v74
	v_add_f32_e32 v37, v52, v37
	v_add_f32_e32 v38, v78, v42
	v_sub_f32_e32 v39, v58, v63
	v_add_f32_e32 v41, v62, v53
	v_sub_f32_e32 v52, v53, v62
	;; [unrolled: 2-line block ×3, first 2 shown]
	v_sub_f32_e32 v40, v51, v77
	v_add_f32_e32 v51, v77, v51
	v_sub_f32_e32 v55, v55, v79
	v_add_f32_e32 v56, v76, v56
	;; [unrolled: 2-line block ×3, first 2 shown]
	ds_write2_b64 v49, v[0:1], v[4:5] offset1:49
	ds_write2_b64 v49, v[10:11], v[6:7] offset0:98 offset1:147
	ds_write2_b64 v49, v[8:9], v[34:35] offset0:196 offset1:245
	;; [unrolled: 1-line block ×6, first 2 shown]
	v_add_co_u32 v0, s0, 0x800, v21
	v_add_co_ci_u32_e64 v1, s0, 0, v33, s0
	s_waitcnt lgkmcnt(0)
	s_barrier
	buffer_gl0_inv
	s_clause 0x6
	global_load_dwordx2 v[31:32], v[31:32], off offset:640
	global_load_dwordx2 v[34:35], v[64:65], off offset:640
	;; [unrolled: 1-line block ×7, first 2 shown]
	ds_read2_b64 v[0:3], v17 offset0:87 offset1:136
	ds_read2_b64 v[4:7], v17 offset0:185 offset1:234
	v_lshl_add_u32 v21, v30, 3, 0
	ds_read2_b32 v[55:56], v13 offset0:54 offset1:55
	ds_read_b64 v[57:58], v49
	ds_read2_b64 v[8:11], v13 offset0:76 offset1:125
	ds_read_b64 v[59:60], v25
	ds_read_b64 v[61:62], v23
	;; [unrolled: 1-line block ×6, first 2 shown]
	s_waitcnt vmcnt(0) lgkmcnt(0)
	s_barrier
	buffer_gl0_inv
	v_mul_f32_e32 v30, v32, v1
	v_mul_f32_e32 v32, v32, v0
	;; [unrolled: 1-line block ×14, first 2 shown]
	v_fma_f32 v0, v31, v0, -v30
	v_fmac_f32_e32 v32, v31, v1
	v_fma_f32 v2, v34, v2, -v33
	v_fmac_f32_e32 v35, v34, v3
	;; [unrolled: 2-line block ×7, first 2 shown]
	v_sub_f32_e32 v0, v57, v0
	v_sub_f32_e32 v1, v58, v32
	;; [unrolled: 1-line block ×14, first 2 shown]
	v_fma_f32 v32, v57, 2.0, -v0
	v_fma_f32 v33, v58, 2.0, -v1
	;; [unrolled: 1-line block ×14, first 2 shown]
	ds_write_b64 v49, v[0:1] offset:2744
	ds_write_b64 v49, v[32:33]
	ds_write_b64 v50, v[34:35]
	ds_write_b64 v50, v[2:3] offset:2744
	ds_write_b64 v25, v[36:37]
	ds_write_b64 v25, v[4:5] offset:2744
	;; [unrolled: 2-line block ×6, first 2 shown]
	s_waitcnt lgkmcnt(0)
	s_barrier
	buffer_gl0_inv
	s_and_saveexec_b32 s0, vcc_lo
	s_cbranch_execz .LBB0_15
; %bb.14:
	v_mad_u64_u32 v[4:5], null, s2, v20, 0
	v_mad_u64_u32 v[6:7], null, s2, v24, 0
	;; [unrolled: 1-line block ×3, first 2 shown]
	v_add_co_u32 v34, vcc_lo, s12, v26
	v_mov_b32_e32 v0, v5
	v_add_co_ci_u32_e32 v35, vcc_lo, s13, v27, vcc_lo
	v_mov_b32_e32 v5, v7
	v_mov_b32_e32 v7, v9
	v_mad_u64_u32 v[10:11], null, s3, v20, v[0:1]
	ds_read2_b64 v[0:3], v49 offset1:49
	v_mad_u64_u32 v[19:20], null, s3, v24, v[5:6]
	v_mad_u64_u32 v[20:21], null, s3, v22, v[7:8]
	;; [unrolled: 1-line block ×3, first 2 shown]
	v_mov_b32_e32 v5, v10
	v_mad_u64_u32 v[10:11], null, s2, v18, 0
	v_mov_b32_e32 v7, v19
	v_mov_b32_e32 v9, v20
	v_lshlrev_b64 v[4:5], 3, v[4:5]
	v_mad_u64_u32 v[30:31], null, s2, v12, 0
	v_lshlrev_b64 v[6:7], 3, v[6:7]
	v_mad_u64_u32 v[25:26], null, s3, v18, v[11:12]
	v_add_co_u32 v19, vcc_lo, v34, v4
	v_add_co_ci_u32_e32 v20, vcc_lo, v35, v5, vcc_lo
	v_add_co_u32 v21, vcc_lo, v34, v6
	v_add_co_ci_u32_e32 v22, vcc_lo, v35, v7, vcc_lo
	ds_read2_b64 v[4:7], v49 offset0:98 offset1:147
	v_lshlrev_b64 v[8:9], 3, v[8:9]
	v_mov_b32_e32 v11, v24
	v_mad_u64_u32 v[26:27], null, s2, v14, 0
	v_add_co_u32 v8, vcc_lo, v34, v8
	v_mad_u64_u32 v[32:33], null, s3, v16, v[11:12]
	v_mov_b32_e32 v11, v25
	v_add_co_ci_u32_e32 v9, vcc_lo, v35, v9, vcc_lo
	s_waitcnt lgkmcnt(1)
	global_store_dwordx2 v[19:20], v[0:1], off
	global_store_dwordx2 v[21:22], v[2:3], off
	s_waitcnt lgkmcnt(0)
	global_store_dwordx2 v[8:9], v[4:5], off
	v_lshlrev_b64 v[1:2], 3, v[10:11]
	v_mov_b32_e32 v0, v27
	v_mov_b32_e32 v3, v31
	;; [unrolled: 1-line block ×3, first 2 shown]
	v_mad_u64_u32 v[4:5], null, s3, v14, v[0:1]
	v_add_co_u32 v18, vcc_lo, v34, v1
	v_add_co_ci_u32_e32 v19, vcc_lo, v35, v2, vcc_lo
	v_mad_u64_u32 v[8:9], null, s3, v12, v[3:4]
	v_lshlrev_b64 v[9:10], 3, v[23:24]
	v_mov_b32_e32 v27, v4
	v_mad_u64_u32 v[4:5], null, s2, v48, 0
	ds_read2_b64 v[0:3], v49 offset0:196 offset1:245
	v_add_co_u32 v20, vcc_lo, v34, v9
	v_mov_b32_e32 v31, v8
	v_lshlrev_b64 v[22:23], 3, v[26:27]
	v_mad_u64_u32 v[26:27], null, s2, v47, 0
	v_add_co_ci_u32_e32 v21, vcc_lo, v35, v10, vcc_lo
	ds_read2_b64 v[8:11], v17 offset0:38 offset1:87
	v_lshlrev_b64 v[24:25], 3, v[30:31]
	v_mad_u64_u32 v[30:31], null, s3, v48, v[5:6]
	v_mov_b32_e32 v5, v27
	v_add_co_u32 v22, vcc_lo, v34, v22
	v_add_co_ci_u32_e32 v23, vcc_lo, v35, v23, vcc_lo
	v_mad_u64_u32 v[27:28], null, s3, v47, v[5:6]
	v_mov_b32_e32 v5, v30
	v_add_co_u32 v24, vcc_lo, v34, v24
	v_add_co_ci_u32_e32 v25, vcc_lo, v35, v25, vcc_lo
	v_mad_u64_u32 v[31:32], null, s2, v46, 0
	global_store_dwordx2 v[18:19], v[6:7], off
	s_waitcnt lgkmcnt(1)
	global_store_dwordx2 v[20:21], v[0:1], off
	global_store_dwordx2 v[22:23], v[2:3], off
	s_waitcnt lgkmcnt(0)
	global_store_dwordx2 v[24:25], v[8:9], off
	v_lshlrev_b64 v[0:1], 3, v[4:5]
	v_mad_u64_u32 v[8:9], null, s2, v45, 0
	v_mov_b32_e32 v4, v32
	v_add_co_u32 v5, vcc_lo, v34, v0
	v_add_co_ci_u32_e32 v6, vcc_lo, v35, v1, vcc_lo
	ds_read2_b64 v[0:3], v17 offset0:136 offset1:185
	v_mad_u64_u32 v[18:19], null, s3, v46, v[4:5]
	v_mad_u64_u32 v[19:20], null, s2, v44, 0
	v_lshlrev_b64 v[16:17], 3, v[26:27]
	v_mov_b32_e32 v4, v9
	v_mov_b32_e32 v32, v18
	v_mad_u64_u32 v[21:22], null, s3, v45, v[4:5]
	v_add_co_u32 v16, vcc_lo, v34, v16
	v_mad_u64_u32 v[22:23], null, s2, v43, 0
	v_mov_b32_e32 v4, v20
	v_add_co_ci_u32_e32 v17, vcc_lo, v35, v17, vcc_lo
	global_store_dwordx2 v[5:6], v[10:11], off
	s_waitcnt lgkmcnt(0)
	global_store_dwordx2 v[16:17], v[0:1], off
	v_mad_u64_u32 v[24:25], null, s3, v44, v[4:5]
	v_mad_u64_u32 v[16:17], null, s2, v29, 0
	v_mov_b32_e32 v4, v23
	v_mov_b32_e32 v9, v21
	v_lshlrev_b64 v[0:1], 3, v[31:32]
	v_mov_b32_e32 v20, v24
	v_mad_u64_u32 v[10:11], null, s3, v43, v[4:5]
	v_mov_b32_e32 v11, v17
	ds_read2_b64 v[4:7], v15 offset0:106 offset1:155
	v_lshlrev_b64 v[18:19], 3, v[19:20]
	v_lshlrev_b64 v[14:15], 3, v[8:9]
	v_add_co_u32 v0, vcc_lo, v34, v0
	v_mad_u64_u32 v[20:21], null, s3, v29, v[11:12]
	v_mov_b32_e32 v23, v10
	ds_read2_b64 v[8:11], v13 offset0:76 offset1:125
	v_add_co_ci_u32_e32 v1, vcc_lo, v35, v1, vcc_lo
	v_add_co_u32 v12, vcc_lo, v34, v14
	v_mov_b32_e32 v17, v20
	v_add_co_ci_u32_e32 v13, vcc_lo, v35, v15, vcc_lo
	v_lshlrev_b64 v[14:15], 3, v[22:23]
	v_add_co_u32 v18, vcc_lo, v34, v18
	v_lshlrev_b64 v[16:17], 3, v[16:17]
	v_add_co_ci_u32_e32 v19, vcc_lo, v35, v19, vcc_lo
	v_add_co_u32 v14, vcc_lo, v34, v14
	v_add_co_ci_u32_e32 v15, vcc_lo, v35, v15, vcc_lo
	v_add_co_u32 v16, vcc_lo, v34, v16
	v_add_co_ci_u32_e32 v17, vcc_lo, v35, v17, vcc_lo
	global_store_dwordx2 v[0:1], v[2:3], off
	s_waitcnt lgkmcnt(1)
	global_store_dwordx2 v[12:13], v[4:5], off
	global_store_dwordx2 v[18:19], v[6:7], off
	s_waitcnt lgkmcnt(0)
	global_store_dwordx2 v[14:15], v[8:9], off
	global_store_dwordx2 v[16:17], v[10:11], off
.LBB0_15:
	s_endpgm
	.section	.rodata,"a",@progbits
	.p2align	6, 0x0
	.amdhsa_kernel fft_rtc_fwd_len686_factors_7_7_7_2_wgs_49_tpt_49_sp_ip_CI_sbrr_dirReg
		.amdhsa_group_segment_fixed_size 0
		.amdhsa_private_segment_fixed_size 0
		.amdhsa_kernarg_size 88
		.amdhsa_user_sgpr_count 6
		.amdhsa_user_sgpr_private_segment_buffer 1
		.amdhsa_user_sgpr_dispatch_ptr 0
		.amdhsa_user_sgpr_queue_ptr 0
		.amdhsa_user_sgpr_kernarg_segment_ptr 1
		.amdhsa_user_sgpr_dispatch_id 0
		.amdhsa_user_sgpr_flat_scratch_init 0
		.amdhsa_user_sgpr_private_segment_size 0
		.amdhsa_wavefront_size32 1
		.amdhsa_uses_dynamic_stack 0
		.amdhsa_system_sgpr_private_segment_wavefront_offset 0
		.amdhsa_system_sgpr_workgroup_id_x 1
		.amdhsa_system_sgpr_workgroup_id_y 0
		.amdhsa_system_sgpr_workgroup_id_z 0
		.amdhsa_system_sgpr_workgroup_info 0
		.amdhsa_system_vgpr_workitem_id 0
		.amdhsa_next_free_vgpr 101
		.amdhsa_next_free_sgpr 23
		.amdhsa_reserve_vcc 1
		.amdhsa_reserve_flat_scratch 0
		.amdhsa_float_round_mode_32 0
		.amdhsa_float_round_mode_16_64 0
		.amdhsa_float_denorm_mode_32 3
		.amdhsa_float_denorm_mode_16_64 3
		.amdhsa_dx10_clamp 1
		.amdhsa_ieee_mode 1
		.amdhsa_fp16_overflow 0
		.amdhsa_workgroup_processor_mode 1
		.amdhsa_memory_ordered 1
		.amdhsa_forward_progress 0
		.amdhsa_shared_vgpr_count 0
		.amdhsa_exception_fp_ieee_invalid_op 0
		.amdhsa_exception_fp_denorm_src 0
		.amdhsa_exception_fp_ieee_div_zero 0
		.amdhsa_exception_fp_ieee_overflow 0
		.amdhsa_exception_fp_ieee_underflow 0
		.amdhsa_exception_fp_ieee_inexact 0
		.amdhsa_exception_int_div_zero 0
	.end_amdhsa_kernel
	.text
.Lfunc_end0:
	.size	fft_rtc_fwd_len686_factors_7_7_7_2_wgs_49_tpt_49_sp_ip_CI_sbrr_dirReg, .Lfunc_end0-fft_rtc_fwd_len686_factors_7_7_7_2_wgs_49_tpt_49_sp_ip_CI_sbrr_dirReg
                                        ; -- End function
	.section	.AMDGPU.csdata,"",@progbits
; Kernel info:
; codeLenInByte = 8320
; NumSgprs: 25
; NumVgprs: 101
; ScratchSize: 0
; MemoryBound: 0
; FloatMode: 240
; IeeeMode: 1
; LDSByteSize: 0 bytes/workgroup (compile time only)
; SGPRBlocks: 3
; VGPRBlocks: 12
; NumSGPRsForWavesPerEU: 25
; NumVGPRsForWavesPerEU: 101
; Occupancy: 9
; WaveLimiterHint : 1
; COMPUTE_PGM_RSRC2:SCRATCH_EN: 0
; COMPUTE_PGM_RSRC2:USER_SGPR: 6
; COMPUTE_PGM_RSRC2:TRAP_HANDLER: 0
; COMPUTE_PGM_RSRC2:TGID_X_EN: 1
; COMPUTE_PGM_RSRC2:TGID_Y_EN: 0
; COMPUTE_PGM_RSRC2:TGID_Z_EN: 0
; COMPUTE_PGM_RSRC2:TIDIG_COMP_CNT: 0
	.text
	.p2alignl 6, 3214868480
	.fill 48, 4, 3214868480
	.type	__hip_cuid_d2dc7c1fee71ec90,@object ; @__hip_cuid_d2dc7c1fee71ec90
	.section	.bss,"aw",@nobits
	.globl	__hip_cuid_d2dc7c1fee71ec90
__hip_cuid_d2dc7c1fee71ec90:
	.byte	0                               ; 0x0
	.size	__hip_cuid_d2dc7c1fee71ec90, 1

	.ident	"AMD clang version 19.0.0git (https://github.com/RadeonOpenCompute/llvm-project roc-6.4.0 25133 c7fe45cf4b819c5991fe208aaa96edf142730f1d)"
	.section	".note.GNU-stack","",@progbits
	.addrsig
	.addrsig_sym __hip_cuid_d2dc7c1fee71ec90
	.amdgpu_metadata
---
amdhsa.kernels:
  - .args:
      - .actual_access:  read_only
        .address_space:  global
        .offset:         0
        .size:           8
        .value_kind:     global_buffer
      - .offset:         8
        .size:           8
        .value_kind:     by_value
      - .actual_access:  read_only
        .address_space:  global
        .offset:         16
        .size:           8
        .value_kind:     global_buffer
      - .actual_access:  read_only
        .address_space:  global
        .offset:         24
        .size:           8
        .value_kind:     global_buffer
      - .offset:         32
        .size:           8
        .value_kind:     by_value
      - .actual_access:  read_only
        .address_space:  global
        .offset:         40
        .size:           8
        .value_kind:     global_buffer
      - .actual_access:  read_only
        .address_space:  global
        .offset:         48
        .size:           8
        .value_kind:     global_buffer
      - .offset:         56
        .size:           4
        .value_kind:     by_value
      - .actual_access:  read_only
        .address_space:  global
        .offset:         64
        .size:           8
        .value_kind:     global_buffer
      - .actual_access:  read_only
        .address_space:  global
        .offset:         72
        .size:           8
        .value_kind:     global_buffer
      - .address_space:  global
        .offset:         80
        .size:           8
        .value_kind:     global_buffer
    .group_segment_fixed_size: 0
    .kernarg_segment_align: 8
    .kernarg_segment_size: 88
    .language:       OpenCL C
    .language_version:
      - 2
      - 0
    .max_flat_workgroup_size: 49
    .name:           fft_rtc_fwd_len686_factors_7_7_7_2_wgs_49_tpt_49_sp_ip_CI_sbrr_dirReg
    .private_segment_fixed_size: 0
    .sgpr_count:     25
    .sgpr_spill_count: 0
    .symbol:         fft_rtc_fwd_len686_factors_7_7_7_2_wgs_49_tpt_49_sp_ip_CI_sbrr_dirReg.kd
    .uniform_work_group_size: 1
    .uses_dynamic_stack: false
    .vgpr_count:     101
    .vgpr_spill_count: 0
    .wavefront_size: 32
    .workgroup_processor_mode: 1
amdhsa.target:   amdgcn-amd-amdhsa--gfx1030
amdhsa.version:
  - 1
  - 2
...

	.end_amdgpu_metadata
